;; amdgpu-corpus repo=ROCm/rocFFT kind=compiled arch=gfx1201 opt=O3
	.text
	.amdgcn_target "amdgcn-amd-amdhsa--gfx1201"
	.amdhsa_code_object_version 6
	.protected	fft_rtc_fwd_len216_factors_6_6_6_wgs_324_tpt_36_half_ip_CI_sbcc_twdbase8_3step ; -- Begin function fft_rtc_fwd_len216_factors_6_6_6_wgs_324_tpt_36_half_ip_CI_sbcc_twdbase8_3step
	.globl	fft_rtc_fwd_len216_factors_6_6_6_wgs_324_tpt_36_half_ip_CI_sbcc_twdbase8_3step
	.p2align	8
	.type	fft_rtc_fwd_len216_factors_6_6_6_wgs_324_tpt_36_half_ip_CI_sbcc_twdbase8_3step,@function
fft_rtc_fwd_len216_factors_6_6_6_wgs_324_tpt_36_half_ip_CI_sbcc_twdbase8_3step: ; @fft_rtc_fwd_len216_factors_6_6_6_wgs_324_tpt_36_half_ip_CI_sbcc_twdbase8_3step
; %bb.0:
	s_load_b128 s[12:15], s[0:1], 0x18
	s_mov_b32 s21, 0
	s_mov_b32 s2, 0x71c4fc00
	s_movk_i32 s3, 0x7c
	s_mov_b32 s20, s21
	s_mov_b64 s[26:27], 0
	s_add_nc_u64 s[2:3], s[20:21], s[2:3]
	s_delay_alu instid0(SALU_CYCLE_1) | instskip(NEXT) | instid1(SALU_CYCLE_1)
	s_add_co_i32 s3, s3, 0x1c71c6a0
	s_mul_u64 s[4:5], s[2:3], -9
	s_delay_alu instid0(SALU_CYCLE_1)
	s_mul_hi_u32 s7, s2, s5
	s_mul_i32 s6, s2, s5
	s_mul_hi_u32 s20, s2, s4
	s_mul_i32 s9, s3, s4
	s_add_nc_u64 s[6:7], s[20:21], s[6:7]
	s_mul_hi_u32 s8, s3, s4
	s_mul_hi_u32 s10, s3, s5
	s_mul_i32 s4, s3, s5
	s_wait_kmcnt 0x0
	s_load_b64 s[18:19], s[12:13], 0x8
	s_add_co_u32 s5, s6, s9
	s_add_co_ci_u32 s20, s7, s8
	s_add_co_ci_u32 s5, s10, 0
	s_delay_alu instid0(SALU_CYCLE_1) | instskip(NEXT) | instid1(SALU_CYCLE_1)
	s_add_nc_u64 s[4:5], s[20:21], s[4:5]
	v_add_co_u32 v1, s2, s2, s4
	s_delay_alu instid0(VALU_DEP_1) | instskip(SKIP_1) | instid1(VALU_DEP_1)
	s_cmp_lg_u32 s2, 0
	s_add_co_ci_u32 s6, s3, s5
	v_readfirstlane_b32 s7, v1
	s_wait_kmcnt 0x0
	s_add_nc_u64 s[2:3], s[18:19], -1
	s_wait_alu 0xfffe
	s_mul_hi_u32 s5, s2, s6
	s_mul_i32 s4, s2, s6
	s_mul_hi_u32 s20, s2, s7
	s_mul_hi_u32 s9, s3, s7
	s_mul_i32 s7, s3, s7
	s_wait_alu 0xfffe
	s_add_nc_u64 s[4:5], s[20:21], s[4:5]
	s_mul_hi_u32 s8, s3, s6
	s_wait_alu 0xfffe
	s_add_co_u32 s4, s4, s7
	s_add_co_ci_u32 s20, s5, s9
	s_mul_i32 s6, s3, s6
	s_add_co_ci_u32 s7, s8, 0
	s_delay_alu instid0(SALU_CYCLE_1) | instskip(SKIP_3) | instid1(SALU_CYCLE_1)
	s_add_nc_u64 s[4:5], s[20:21], s[6:7]
	s_mov_b32 s20, ttmp9
	s_wait_alu 0xfffe
	s_mul_u64 s[6:7], s[4:5], 9
	v_sub_co_u32 v1, s2, s2, s6
	s_delay_alu instid0(VALU_DEP_1) | instskip(SKIP_1) | instid1(VALU_DEP_1)
	s_cmp_lg_u32 s2, 0
	s_sub_co_ci_u32 s8, s3, s7
	v_sub_co_u32 v2, s6, v1, 9
	s_delay_alu instid0(VALU_DEP_1) | instskip(SKIP_2) | instid1(VALU_DEP_2)
	s_cmp_lg_u32 s6, 0
	v_readfirstlane_b32 s10, v1
	s_sub_co_ci_u32 s6, s8, 0
	v_readfirstlane_b32 s2, v2
	s_delay_alu instid0(VALU_DEP_1)
	s_cmp_gt_u32 s2, 8
	s_add_nc_u64 s[2:3], s[4:5], 1
	s_cselect_b32 s9, -1, 0
	s_wait_alu 0xfffe
	s_cmp_eq_u32 s6, 0
	s_add_nc_u64 s[6:7], s[4:5], 2
	s_cselect_b32 s9, s9, -1
	s_delay_alu instid0(SALU_CYCLE_1)
	s_cmp_lg_u32 s9, 0
	s_wait_alu 0xfffe
	s_cselect_b32 s2, s6, s2
	s_cselect_b32 s3, s7, s3
	s_cmp_gt_u32 s10, 8
	s_cselect_b32 s6, -1, 0
	s_cmp_eq_u32 s8, 0
	s_wait_alu 0xfffe
	s_cselect_b32 s6, s6, -1
	s_wait_alu 0xfffe
	s_cmp_lg_u32 s6, 0
	s_cselect_b32 s3, s3, s5
	s_cselect_b32 s2, s2, s4
	s_wait_alu 0xfffe
	s_add_nc_u64 s[22:23], s[2:3], 1
	s_delay_alu instid0(SALU_CYCLE_1) | instskip(NEXT) | instid1(VALU_DEP_1)
	v_cmp_lt_u64_e64 s2, s[20:21], s[22:23]
	s_and_b32 vcc_lo, exec_lo, s2
	s_cbranch_vccnz .LBB0_2
; %bb.1:
	v_cvt_f32_u32_e32 v1, s22
	s_sub_co_i32 s3, 0, s22
	s_mov_b32 s27, s21
	s_delay_alu instid0(VALU_DEP_1) | instskip(NEXT) | instid1(TRANS32_DEP_1)
	v_rcp_iflag_f32_e32 v1, v1
	v_mul_f32_e32 v1, 0x4f7ffffe, v1
	s_delay_alu instid0(VALU_DEP_1) | instskip(NEXT) | instid1(VALU_DEP_1)
	v_cvt_u32_f32_e32 v1, v1
	v_readfirstlane_b32 s2, v1
	s_wait_alu 0xfffe
	s_delay_alu instid0(VALU_DEP_1)
	s_mul_i32 s3, s3, s2
	s_wait_alu 0xfffe
	s_mul_hi_u32 s3, s2, s3
	s_wait_alu 0xfffe
	s_add_co_i32 s2, s2, s3
	s_wait_alu 0xfffe
	s_mul_hi_u32 s2, s20, s2
	s_wait_alu 0xfffe
	s_mul_i32 s3, s2, s22
	s_add_co_i32 s4, s2, 1
	s_wait_alu 0xfffe
	s_sub_co_i32 s3, s20, s3
	s_wait_alu 0xfffe
	s_sub_co_i32 s5, s3, s22
	s_cmp_ge_u32 s3, s22
	s_cselect_b32 s2, s4, s2
	s_wait_alu 0xfffe
	s_cselect_b32 s3, s5, s3
	s_add_co_i32 s4, s2, 1
	s_wait_alu 0xfffe
	s_cmp_ge_u32 s3, s22
	s_cselect_b32 s26, s4, s2
.LBB0_2:
	s_load_b128 s[8:11], s[0:1], 0x8
	s_load_b128 s[4:7], s[14:15], 0x0
	s_load_b64 s[2:3], s[0:1], 0x0
	s_mul_u64 s[16:17], s[26:27], s[22:23]
	s_delay_alu instid0(SALU_CYCLE_1) | instskip(NEXT) | instid1(SALU_CYCLE_1)
	s_sub_nc_u64 s[16:17], s[20:21], s[16:17]
	s_mul_u64 s[16:17], s[16:17], 9
	s_wait_kmcnt 0x0
	v_cmp_lt_u64_e64 s24, s[10:11], 3
	s_delay_alu instid0(VALU_DEP_1)
	s_and_b32 vcc_lo, exec_lo, s24
	s_mul_u64 s[24:25], s[6:7], s[16:17]
	s_cbranch_vccnz .LBB0_12
; %bb.3:
	s_add_nc_u64 s[28:29], s[14:15], 16
	s_add_nc_u64 s[12:13], s[12:13], 16
	s_mov_b64 s[30:31], 2
	s_mov_b32 s34, 0
.LBB0_4:                                ; =>This Inner Loop Header: Depth=1
	s_load_b64 s[36:37], s[12:13], 0x0
                                        ; implicit-def: $sgpr40_sgpr41
	s_wait_kmcnt 0x0
	s_or_b64 s[38:39], s[26:27], s[36:37]
	s_delay_alu instid0(SALU_CYCLE_1)
	s_mov_b32 s35, s39
	s_mov_b32 s39, -1
	s_cmp_lg_u64 s[34:35], 0
	s_cbranch_scc0 .LBB0_6
; %bb.5:                                ;   in Loop: Header=BB0_4 Depth=1
	s_cvt_f32_u32 s33, s36
	s_cvt_f32_u32 s35, s37
	s_sub_nc_u64 s[42:43], 0, s[36:37]
	s_mov_b32 s39, 0
	s_mov_b32 s47, s34
	s_wait_alu 0xfffe
	s_fmamk_f32 s33, s35, 0x4f800000, s33
	s_wait_alu 0xfffe
	s_delay_alu instid0(SALU_CYCLE_2) | instskip(NEXT) | instid1(TRANS32_DEP_1)
	v_s_rcp_f32 s33, s33
	s_mul_f32 s33, s33, 0x5f7ffffc
	s_wait_alu 0xfffe
	s_delay_alu instid0(SALU_CYCLE_2) | instskip(NEXT) | instid1(SALU_CYCLE_3)
	s_mul_f32 s35, s33, 0x2f800000
	s_trunc_f32 s35, s35
	s_delay_alu instid0(SALU_CYCLE_3) | instskip(SKIP_2) | instid1(SALU_CYCLE_1)
	s_fmamk_f32 s33, s35, 0xcf800000, s33
	s_cvt_u32_f32 s41, s35
	s_wait_alu 0xfffe
	s_cvt_u32_f32 s40, s33
	s_wait_alu 0xfffe
	s_delay_alu instid0(SALU_CYCLE_2)
	s_mul_u64 s[44:45], s[42:43], s[40:41]
	s_wait_alu 0xfffe
	s_mul_hi_u32 s49, s40, s45
	s_mul_i32 s48, s40, s45
	s_mul_hi_u32 s38, s40, s44
	s_mul_i32 s35, s41, s44
	s_add_nc_u64 s[48:49], s[38:39], s[48:49]
	s_mul_hi_u32 s33, s41, s44
	s_mul_hi_u32 s50, s41, s45
	s_add_co_u32 s35, s48, s35
	s_wait_alu 0xfffe
	s_add_co_ci_u32 s46, s49, s33
	s_mul_i32 s44, s41, s45
	s_add_co_ci_u32 s45, s50, 0
	s_wait_alu 0xfffe
	s_add_nc_u64 s[44:45], s[46:47], s[44:45]
	s_wait_alu 0xfffe
	v_add_co_u32 v1, s33, s40, s44
	s_delay_alu instid0(VALU_DEP_1) | instskip(SKIP_1) | instid1(VALU_DEP_1)
	s_cmp_lg_u32 s33, 0
	s_add_co_ci_u32 s41, s41, s45
	v_readfirstlane_b32 s40, v1
	s_mov_b32 s45, s34
	s_wait_alu 0xfffe
	s_delay_alu instid0(VALU_DEP_1)
	s_mul_u64 s[42:43], s[42:43], s[40:41]
	s_wait_alu 0xfffe
	s_mul_hi_u32 s47, s40, s43
	s_mul_i32 s46, s40, s43
	s_mul_hi_u32 s38, s40, s42
	s_mul_i32 s35, s41, s42
	s_add_nc_u64 s[46:47], s[38:39], s[46:47]
	s_mul_hi_u32 s33, s41, s42
	s_mul_hi_u32 s40, s41, s43
	s_add_co_u32 s35, s46, s35
	s_wait_alu 0xfffe
	s_add_co_ci_u32 s44, s47, s33
	s_mul_i32 s42, s41, s43
	s_add_co_ci_u32 s43, s40, 0
	s_wait_alu 0xfffe
	s_add_nc_u64 s[42:43], s[44:45], s[42:43]
	s_wait_alu 0xfffe
	v_add_co_u32 v1, s33, v1, s42
	s_delay_alu instid0(VALU_DEP_1) | instskip(SKIP_1) | instid1(VALU_DEP_1)
	s_cmp_lg_u32 s33, 0
	s_add_co_ci_u32 s33, s41, s43
	v_readfirstlane_b32 s35, v1
	s_wait_alu 0xfffe
	s_mul_hi_u32 s41, s26, s33
	s_mul_i32 s40, s26, s33
	s_mul_hi_u32 s43, s27, s33
	s_mul_i32 s42, s27, s33
	;; [unrolled: 2-line block ×3, first 2 shown]
	s_wait_alu 0xfffe
	s_add_nc_u64 s[40:41], s[38:39], s[40:41]
	s_mul_hi_u32 s35, s27, s35
	s_wait_alu 0xfffe
	s_add_co_u32 s33, s40, s33
	s_add_co_ci_u32 s44, s41, s35
	s_add_co_ci_u32 s43, s43, 0
	s_wait_alu 0xfffe
	s_add_nc_u64 s[40:41], s[44:45], s[42:43]
	s_wait_alu 0xfffe
	s_mul_u64 s[42:43], s[36:37], s[40:41]
	s_add_nc_u64 s[44:45], s[40:41], 1
	s_wait_alu 0xfffe
	v_sub_co_u32 v1, s33, s26, s42
	s_sub_co_i32 s35, s27, s43
	s_cmp_lg_u32 s33, 0
	s_add_nc_u64 s[46:47], s[40:41], 2
	s_delay_alu instid0(VALU_DEP_1) | instskip(SKIP_2) | instid1(VALU_DEP_1)
	v_sub_co_u32 v2, s38, v1, s36
	s_sub_co_ci_u32 s35, s35, s37
	s_cmp_lg_u32 s38, 0
	v_readfirstlane_b32 s38, v2
	s_sub_co_ci_u32 s35, s35, 0
	s_delay_alu instid0(SALU_CYCLE_1) | instskip(SKIP_1) | instid1(VALU_DEP_1)
	s_cmp_ge_u32 s35, s37
	s_cselect_b32 s42, -1, 0
	s_cmp_ge_u32 s38, s36
	s_cselect_b32 s38, -1, 0
	s_cmp_eq_u32 s35, s37
	s_wait_alu 0xfffe
	s_cselect_b32 s35, s38, s42
	s_delay_alu instid0(SALU_CYCLE_1)
	s_cmp_lg_u32 s35, 0
	s_cselect_b32 s35, s46, s44
	s_cselect_b32 s38, s47, s45
	s_cmp_lg_u32 s33, 0
	v_readfirstlane_b32 s33, v1
	s_sub_co_ci_u32 s42, s27, s43
	s_wait_alu 0xfffe
	s_cmp_ge_u32 s42, s37
	s_cselect_b32 s43, -1, 0
	s_cmp_ge_u32 s33, s36
	s_cselect_b32 s33, -1, 0
	s_cmp_eq_u32 s42, s37
	s_wait_alu 0xfffe
	s_cselect_b32 s33, s33, s43
	s_wait_alu 0xfffe
	s_cmp_lg_u32 s33, 0
	s_cselect_b32 s41, s38, s41
	s_cselect_b32 s40, s35, s40
.LBB0_6:                                ;   in Loop: Header=BB0_4 Depth=1
	s_and_not1_b32 vcc_lo, exec_lo, s39
	s_cbranch_vccnz .LBB0_8
; %bb.7:                                ;   in Loop: Header=BB0_4 Depth=1
	v_cvt_f32_u32_e32 v1, s36
	s_sub_co_i32 s35, 0, s36
	s_mov_b32 s41, s34
	s_delay_alu instid0(VALU_DEP_1) | instskip(NEXT) | instid1(TRANS32_DEP_1)
	v_rcp_iflag_f32_e32 v1, v1
	v_mul_f32_e32 v1, 0x4f7ffffe, v1
	s_delay_alu instid0(VALU_DEP_1) | instskip(NEXT) | instid1(VALU_DEP_1)
	v_cvt_u32_f32_e32 v1, v1
	v_readfirstlane_b32 s33, v1
	s_delay_alu instid0(VALU_DEP_1) | instskip(NEXT) | instid1(SALU_CYCLE_1)
	s_mul_i32 s35, s35, s33
	s_mul_hi_u32 s35, s33, s35
	s_delay_alu instid0(SALU_CYCLE_1)
	s_add_co_i32 s33, s33, s35
	s_wait_alu 0xfffe
	s_mul_hi_u32 s33, s26, s33
	s_wait_alu 0xfffe
	s_mul_i32 s35, s33, s36
	s_add_co_i32 s38, s33, 1
	s_sub_co_i32 s35, s26, s35
	s_delay_alu instid0(SALU_CYCLE_1)
	s_sub_co_i32 s39, s35, s36
	s_cmp_ge_u32 s35, s36
	s_cselect_b32 s33, s38, s33
	s_cselect_b32 s35, s39, s35
	s_wait_alu 0xfffe
	s_add_co_i32 s38, s33, 1
	s_cmp_ge_u32 s35, s36
	s_cselect_b32 s40, s38, s33
.LBB0_8:                                ;   in Loop: Header=BB0_4 Depth=1
	s_load_b64 s[38:39], s[28:29], 0x0
	s_add_nc_u64 s[30:31], s[30:31], 1
	s_mul_u64 s[22:23], s[36:37], s[22:23]
	s_wait_alu 0xfffe
	v_cmp_ge_u64_e64 s33, s[30:31], s[10:11]
	s_mul_u64 s[36:37], s[40:41], s[36:37]
	s_add_nc_u64 s[28:29], s[28:29], 8
	s_wait_alu 0xfffe
	s_sub_nc_u64 s[26:27], s[26:27], s[36:37]
	s_add_nc_u64 s[12:13], s[12:13], 8
	s_and_b32 vcc_lo, exec_lo, s33
	s_wait_kmcnt 0x0
	s_wait_alu 0xfffe
	s_mul_u64 s[26:27], s[38:39], s[26:27]
	s_wait_alu 0xfffe
	s_add_nc_u64 s[24:25], s[26:27], s[24:25]
	s_cbranch_vccnz .LBB0_10
; %bb.9:                                ;   in Loop: Header=BB0_4 Depth=1
	s_mov_b64 s[26:27], s[40:41]
	s_branch .LBB0_4
.LBB0_10:
	v_cmp_lt_u64_e64 s12, s[20:21], s[22:23]
	s_mov_b64 s[26:27], 0
	s_delay_alu instid0(VALU_DEP_1)
	s_and_b32 vcc_lo, exec_lo, s12
	s_cbranch_vccnz .LBB0_12
; %bb.11:
	v_cvt_f32_u32_e32 v1, s22
	s_sub_co_i32 s13, 0, s22
	s_mov_b32 s27, 0
	s_delay_alu instid0(VALU_DEP_1) | instskip(NEXT) | instid1(TRANS32_DEP_1)
	v_rcp_iflag_f32_e32 v1, v1
	v_mul_f32_e32 v1, 0x4f7ffffe, v1
	s_delay_alu instid0(VALU_DEP_1) | instskip(NEXT) | instid1(VALU_DEP_1)
	v_cvt_u32_f32_e32 v1, v1
	v_readfirstlane_b32 s12, v1
	s_delay_alu instid0(VALU_DEP_1) | instskip(NEXT) | instid1(SALU_CYCLE_1)
	s_mul_i32 s13, s13, s12
	s_mul_hi_u32 s13, s12, s13
	s_delay_alu instid0(SALU_CYCLE_1) | instskip(NEXT) | instid1(SALU_CYCLE_1)
	s_add_co_i32 s12, s12, s13
	s_mul_hi_u32 s12, s20, s12
	s_delay_alu instid0(SALU_CYCLE_1) | instskip(NEXT) | instid1(SALU_CYCLE_1)
	s_mul_i32 s13, s12, s22
	s_sub_co_i32 s13, s20, s13
	s_add_co_i32 s20, s12, 1
	s_sub_co_i32 s21, s13, s22
	s_cmp_ge_u32 s13, s22
	s_wait_alu 0xfffe
	s_cselect_b32 s12, s20, s12
	s_cselect_b32 s13, s21, s13
	s_add_co_i32 s20, s12, 1
	s_cmp_ge_u32 s13, s22
	s_wait_alu 0xfffe
	s_cselect_b32 s26, s20, s12
.LBB0_12:
	v_mul_u32_u24_e32 v1, 0x1c72, v0
	s_lshl_b64 s[10:11], s[10:11], 3
	s_load_b64 s[0:1], s[0:1], 0x58
	s_add_nc_u64 s[10:11], s[14:15], s[10:11]
	s_add_nc_u64 s[12:13], s[16:17], 9
	v_lshrrev_b32_e32 v5, 16, v1
	s_load_b64 s[10:11], s[10:11], 0x0
	v_cmp_le_u64_e64 s13, s[12:13], s[18:19]
	s_delay_alu instid0(VALU_DEP_2)
	v_mul_lo_u16 v1, v5, 9
	v_lshlrev_b32_e32 v8, 2, v5
	v_add_nc_u32_e32 v7, 36, v5
	v_add_nc_u32_e32 v4, 0x48, v5
	v_add_nc_u32_e32 v3, 0x90, v5
	v_sub_nc_u16 v1, v0, v1
	s_delay_alu instid0(VALU_DEP_1) | instskip(NEXT) | instid1(VALU_DEP_1)
	v_and_b32_e32 v6, 0xffff, v1
	v_add_co_u32 v1, s12, s16, v6
	s_wait_alu 0xf1ff
	v_add_co_ci_u32_e64 v2, null, s17, 0, s12
	v_mul_u32_u24_e32 v9, 0x360, v6
	s_wait_kmcnt 0x0
	s_mul_u64 s[10:11], s[10:11], s[26:27]
	s_mov_b32 s12, 0
	v_cmp_gt_u64_e32 vcc_lo, s[18:19], v[1:2]
	v_add_nc_u32_e32 v2, 0x6c, v5
	v_add_nc_u32_e32 v1, 0xb4, v5
	s_wait_alu 0xfffe
	s_add_nc_u64 s[10:11], s[10:11], s[24:25]
	s_or_b32 s14, s13, vcc_lo
	s_delay_alu instid0(SALU_CYCLE_1)
	s_and_saveexec_b32 s13, s14
	s_cbranch_execz .LBB0_14
; %bb.13:
	v_mad_co_u64_u32 v[10:11], null, s6, v6, 0
	v_mad_co_u64_u32 v[12:13], null, s4, v5, 0
	;; [unrolled: 1-line block ×5, first 2 shown]
	s_delay_alu instid0(VALU_DEP_4) | instskip(NEXT) | instid1(VALU_DEP_4)
	v_mad_co_u64_u32 v[18:19], null, s7, v6, v[11:12]
	v_mad_co_u64_u32 v[19:20], null, s5, v5, v[13:14]
	;; [unrolled: 1-line block ×3, first 2 shown]
	v_mov_b32_e32 v11, v15
	s_wait_alu 0xfffe
	s_lshl_b64 s[18:19], s[10:11], 2
	s_wait_alu 0xfffe
	s_add_nc_u64 s[18:19], s[0:1], s[18:19]
	s_delay_alu instid0(VALU_DEP_3) | instskip(SKIP_2) | instid1(VALU_DEP_3)
	v_mov_b32_e32 v13, v19
	v_mad_co_u64_u32 v[22:23], null, s5, v7, v[11:12]
	v_dual_mov_b32 v11, v18 :: v_dual_mov_b32 v18, v21
	v_lshlrev_b64_e32 v[12:13], 2, v[12:13]
	s_delay_alu instid0(VALU_DEP_2) | instskip(NEXT) | instid1(VALU_DEP_4)
	v_lshlrev_b64_e32 v[10:11], 2, v[10:11]
	v_mov_b32_e32 v15, v22
	v_mad_co_u64_u32 v[22:23], null, s4, v3, 0
	s_wait_alu 0xfffe
	s_delay_alu instid0(VALU_DEP_3) | instskip(NEXT) | instid1(VALU_DEP_4)
	v_add_co_u32 v27, vcc_lo, s18, v10
	v_add_co_ci_u32_e32 v28, vcc_lo, s19, v11, vcc_lo
	v_mad_co_u64_u32 v[10:11], null, s5, v4, v[17:18]
	v_mad_co_u64_u32 v[18:19], null, s5, v2, v[18:19]
	s_delay_alu instid0(VALU_DEP_4)
	v_add_co_u32 v11, vcc_lo, v27, v12
	v_lshlrev_b64_e32 v[14:15], 2, v[14:15]
	s_wait_alu 0xfffd
	v_add_co_ci_u32_e32 v12, vcc_lo, v28, v13, vcc_lo
	v_mov_b32_e32 v13, v23
	v_mov_b32_e32 v21, v18
	v_dual_mov_b32 v17, v10 :: v_dual_mov_b32 v10, v25
	s_delay_alu instid0(VALU_DEP_3)
	v_mad_co_u64_u32 v[18:19], null, s5, v3, v[13:14]
	v_add_co_u32 v13, vcc_lo, v27, v14
	s_wait_alu 0xfffd
	v_add_co_ci_u32_e32 v14, vcc_lo, v28, v15, vcc_lo
	v_lshlrev_b64_e32 v[15:16], 2, v[16:17]
	v_mad_co_u64_u32 v[25:26], null, s5, v1, v[10:11]
	v_mov_b32_e32 v23, v18
	v_lshlrev_b64_e32 v[19:20], 2, v[20:21]
	s_delay_alu instid0(VALU_DEP_4) | instskip(NEXT) | instid1(VALU_DEP_3)
	v_add_co_u32 v15, vcc_lo, v27, v15
	v_lshlrev_b64_e32 v[17:18], 2, v[22:23]
	s_wait_alu 0xfffd
	v_add_co_ci_u32_e32 v16, vcc_lo, v28, v16, vcc_lo
	s_delay_alu instid0(VALU_DEP_4)
	v_add_co_u32 v19, vcc_lo, v27, v19
	v_lshlrev_b64_e32 v[21:22], 2, v[24:25]
	s_wait_alu 0xfffd
	v_add_co_ci_u32_e32 v20, vcc_lo, v28, v20, vcc_lo
	v_add_co_u32 v17, vcc_lo, v27, v17
	s_wait_alu 0xfffd
	v_add_co_ci_u32_e32 v18, vcc_lo, v28, v18, vcc_lo
	v_add_co_u32 v21, vcc_lo, v27, v21
	s_wait_alu 0xfffd
	v_add_co_ci_u32_e32 v22, vcc_lo, v28, v22, vcc_lo
	s_clause 0x5
	global_load_b32 v10, v[11:12], off
	global_load_b32 v11, v[13:14], off
	global_load_b32 v12, v[15:16], off
	global_load_b32 v13, v[19:20], off
	global_load_b32 v14, v[17:18], off
	global_load_b32 v15, v[21:22], off
	v_add3_u32 v16, 0, v9, v8
	s_wait_loadcnt 0x4
	ds_store_2addr_b32 v16, v10, v11 offset1:36
	s_wait_loadcnt 0x2
	ds_store_2addr_b32 v16, v12, v13 offset0:72 offset1:108
	s_wait_loadcnt 0x0
	ds_store_2addr_b32 v16, v14, v15 offset0:144 offset1:180
.LBB0_14:
	s_wait_alu 0xfffe
	s_or_b32 exec_lo, exec_lo, s13
	s_mov_b32 s18, 0x71c4fc00
	s_movk_i32 s19, 0x7c
	s_mov_b32 s13, s12
	v_and_b32_e32 v10, 0xffff, v0
	s_wait_alu 0xfffe
	s_add_nc_u64 s[18:19], s[12:13], s[18:19]
	s_mov_b32 s25, s12
	s_wait_alu 0xfffe
	s_add_co_i32 s19, s19, 0x1c71c6a0
	global_wb scope:SCOPE_SE
	s_wait_dscnt 0x0
	s_wait_alu 0xfffe
	s_mul_u64 s[20:21], s[18:19], -9
	v_mul_u32_u24_e32 v10, 0x71d, v10
	s_wait_alu 0xfffe
	s_mul_hi_u32 s23, s18, s21
	s_mul_i32 s22, s18, s21
	s_mul_hi_u32 s24, s18, s20
	s_mul_i32 s15, s19, s20
	s_wait_alu 0xfffe
	s_add_nc_u64 s[22:23], s[24:25], s[22:23]
	s_mul_hi_u32 s13, s19, s20
	s_mul_hi_u32 s24, s19, s21
	s_wait_alu 0xfffe
	s_add_co_u32 s15, s22, s15
	s_add_co_ci_u32 s20, s23, s13
	s_add_co_ci_u32 s23, s24, 0
	s_mul_i32 s22, s19, s21
	s_mov_b32 s21, s12
	v_lshrrev_b32_e32 v16, 16, v10
	s_wait_alu 0xfffe
	s_add_nc_u64 s[12:13], s[20:21], s[22:23]
	s_barrier_signal -1
	s_wait_alu 0xfffe
	v_add_co_u32 v10, s12, s18, s12
	s_delay_alu instid0(VALU_DEP_1) | instskip(SKIP_4) | instid1(VALU_DEP_2)
	s_cmp_lg_u32 s12, 0
	v_add_co_u32 v11, s12, s16, v16
	s_wait_alu 0xf1ff
	v_add_co_ci_u32_e64 v17, null, s17, 0, s12
	s_add_co_ci_u32 s12, s19, s13
	v_mul_hi_u32 v18, v11, v10
	s_wait_alu 0xfffe
	v_mad_co_u64_u32 v[12:13], null, v11, s12, 0
	v_mad_co_u64_u32 v[14:15], null, v17, v10, 0
	v_mul_lo_u16 v16, v16, 36
	s_barrier_wait -1
	global_inv scope:SCOPE_SE
	v_add_co_u32 v10, vcc_lo, v18, v12
	s_wait_alu 0xfffd
	v_add_co_ci_u32_e32 v18, vcc_lo, 0, v13, vcc_lo
	v_mad_co_u64_u32 v[12:13], null, v17, s12, 0
	s_delay_alu instid0(VALU_DEP_3) | instskip(SKIP_1) | instid1(VALU_DEP_3)
	v_add_co_u32 v10, vcc_lo, v10, v14
	s_wait_alu 0xfffd
	v_add_co_ci_u32_e32 v10, vcc_lo, v18, v15, vcc_lo
	v_sub_nc_u16 v16, v0, v16
	s_wait_alu 0xfffd
	s_delay_alu instid0(VALU_DEP_4) | instskip(NEXT) | instid1(VALU_DEP_3)
	v_add_co_ci_u32_e32 v13, vcc_lo, 0, v13, vcc_lo
	v_add_co_u32 v10, vcc_lo, v10, v12
	s_wait_alu 0xfffd
	s_delay_alu instid0(VALU_DEP_2) | instskip(NEXT) | instid1(VALU_DEP_2)
	v_add_co_ci_u32_e32 v14, vcc_lo, 0, v13, vcc_lo
	v_mad_co_u64_u32 v[12:13], null, v10, 9, 0
	s_delay_alu instid0(VALU_DEP_1) | instskip(NEXT) | instid1(VALU_DEP_1)
	v_mov_b32_e32 v10, v13
	v_mad_co_u64_u32 v[13:14], null, v14, 9, v[10:11]
	s_delay_alu instid0(VALU_DEP_3) | instskip(SKIP_1) | instid1(VALU_DEP_2)
	v_sub_co_u32 v10, vcc_lo, v11, v12
	s_wait_alu 0xfffd
	v_sub_co_ci_u32_e32 v12, vcc_lo, v17, v13, vcc_lo
	s_delay_alu instid0(VALU_DEP_2) | instskip(SKIP_1) | instid1(VALU_DEP_2)
	v_sub_co_u32 v13, vcc_lo, v10, 9
	s_wait_alu 0xfffd
	v_subrev_co_ci_u32_e32 v14, vcc_lo, 0, v12, vcc_lo
	s_delay_alu instid0(VALU_DEP_2)
	v_cmp_lt_u32_e32 vcc_lo, 8, v13
	s_wait_alu 0xfffd
	v_cndmask_b32_e64 v15, 0, -1, vcc_lo
	v_cmp_lt_u32_e32 vcc_lo, 8, v10
	s_wait_alu 0xfffd
	v_cndmask_b32_e64 v17, 0, -1, vcc_lo
	v_cmp_eq_u32_e32 vcc_lo, 0, v14
	s_wait_alu 0xfffd
	v_cndmask_b32_e32 v14, -1, v15, vcc_lo
	v_cmp_eq_u32_e32 vcc_lo, 0, v12
	v_add_nc_u32_e32 v15, -9, v13
	s_wait_alu 0xfffd
	v_dual_cndmask_b32 v12, -1, v17 :: v_dual_and_b32 v17, 0xffff, v16
	v_cmp_ne_u32_e32 vcc_lo, 0, v14
	s_wait_alu 0xfffd
	s_delay_alu instid0(VALU_DEP_2) | instskip(NEXT) | instid1(VALU_DEP_3)
	v_dual_cndmask_b32 v13, v13, v15 :: v_dual_lshlrev_b32 v14, 2, v17
	v_cmp_ne_u32_e32 vcc_lo, 0, v12
	s_wait_alu 0xfffd
	s_delay_alu instid0(VALU_DEP_2) | instskip(SKIP_1) | instid1(VALU_DEP_2)
	v_cndmask_b32_e32 v0, v10, v13, vcc_lo
	v_and_b32_e32 v10, 0xff, v16
	v_mul_u32_u24_e32 v0, 0xd8, v0
	s_delay_alu instid0(VALU_DEP_2) | instskip(NEXT) | instid1(VALU_DEP_2)
	v_mul_lo_u16 v10, 0xab, v10
	v_lshlrev_b32_e32 v20, 2, v0
	s_delay_alu instid0(VALU_DEP_2) | instskip(NEXT) | instid1(VALU_DEP_2)
	v_lshrrev_b16 v18, 10, v10
	v_add3_u32 v0, 0, v14, v20
	ds_load_2addr_b32 v[12:13], v0 offset0:108 offset1:144
	ds_load_b32 v19, v0 offset:720
	v_add3_u32 v10, 0, v20, v14
	ds_load_2addr_b32 v[14:15], v0 offset0:36 offset1:72
	ds_load_b32 v22, v10
	v_mul_lo_u16 v21, v18, 6
	v_mad_u32_u24 v24, v17, 20, v0
	global_wb scope:SCOPE_SE
	s_wait_dscnt 0x0
	s_barrier_signal -1
	s_barrier_wait -1
	v_sub_nc_u16 v16, v16, v21
	global_inv scope:SCOPE_SE
	v_and_b32_e32 v21, 0xff, v16
	v_pk_add_f16 v23, v12, v19
	v_pk_add_f16 v25, v12, v19 neg_lo:[0,1] neg_hi:[0,1]
	s_delay_alu instid0(VALU_DEP_3)
	v_mul_u32_u24_e32 v16, 5, v21
	v_lshlrev_b32_e32 v21, 2, v21
	v_pk_add_f16 v12, v14, v12
	v_pk_fma_f16 v23, v23, 0.5, v14 op_sel_hi:[1,0,1] neg_lo:[1,0,0] neg_hi:[1,0,0]
	v_pk_add_f16 v14, v15, v13
	v_pk_add_f16 v26, v22, v15
	v_pk_add_f16 v15, v15, v13 neg_lo:[0,1] neg_hi:[0,1]
	v_pk_add_f16 v12, v12, v19
	v_pk_fma_f16 v27, 0x3aee, v25, v23 op_sel:[0,0,1] op_sel_hi:[0,1,0]
	v_pk_fma_f16 v23, 0x3aee, v25, v23 op_sel:[0,0,1] op_sel_hi:[0,1,0] neg_lo:[0,1,0] neg_hi:[0,1,0]
	v_pk_fma_f16 v14, v14, 0.5, v22 op_sel_hi:[1,0,1] neg_lo:[1,0,0] neg_hi:[1,0,0]
	v_pk_mul_f16 v15, 0x3aee, v15 op_sel_hi:[0,1]
	v_pk_add_f16 v13, v26, v13
	v_lshrrev_b32_e32 v22, 16, v27
	v_bfi_b32 v19, 0xffff, v27, v23
	v_mul_f16_e32 v29, 0x3aee, v23
	v_pk_add_f16 v28, v14, v15 op_sel:[0,1] op_sel_hi:[1,0] neg_lo:[0,1] neg_hi:[0,1]
	v_pk_add_f16 v14, v14, v15 op_sel:[0,1] op_sel_hi:[1,0]
	v_mul_f16_e32 v27, 0xbaee, v22
	v_pk_mul_f16 v26, v19, 0.5 op_sel_hi:[1,0]
	v_fmac_f16_e32 v29, 0.5, v22
	v_lshlrev_b32_e32 v16, 2, v16
	v_lshrrev_b32_e32 v22, 16, v14
	v_fmac_f16_e32 v27, 0.5, v23
	v_pk_fma_f16 v15, 0xbaee3aee, v19, v26 op_sel:[0,0,1] op_sel_hi:[1,1,0] neg_lo:[0,0,1] neg_hi:[0,0,1]
	v_lshrrev_b32_e32 v19, 16, v28
	v_bfi_b32 v30, 0xffff, v28, v14
	v_add_f16_e32 v31, v14, v29
	v_sub_f16_e32 v14, v14, v29
	v_lshrrev_b32_e32 v23, 16, v15
	v_pack_b32_f16 v26, v27, v15
	v_add_f16_e32 v19, v19, v27
	v_pk_add_f16 v25, v13, v12
	v_pk_add_f16 v12, v13, v12 neg_lo:[0,1] neg_hi:[0,1]
	v_sub_f16_e32 v22, v22, v23
	v_pk_add_f16 v23, v28, v26 op_sel:[1,0] op_sel_hi:[0,1] neg_lo:[0,1] neg_hi:[0,1]
	v_pk_add_f16 v13, v30, v15
	v_pack_b32_f16 v15, v31, v19
	v_add_nc_u32_e32 v26, 0x90, v17
	s_delay_alu instid0(VALU_DEP_4)
	v_alignbit_b32 v19, v22, v23, 16
	v_pack_b32_f16 v14, v14, v23
	ds_store_2addr_b32 v24, v25, v15 offset1:1
	ds_store_2addr_b32 v24, v13, v12 offset0:2 offset1:3
	ds_store_2addr_b32 v24, v14, v19 offset0:4 offset1:5
	global_wb scope:SCOPE_SE
	s_wait_dscnt 0x0
	s_barrier_signal -1
	s_barrier_wait -1
	global_inv scope:SCOPE_SE
	s_clause 0x1
	global_load_b128 v[12:15], v16, s[2:3]
	global_load_b32 v22, v16, s[2:3] offset:16
	v_mul_u32_u24_e32 v16, 5, v17
	v_add_nc_u32_e32 v23, 36, v17
	v_mul_lo_u32 v19, v11, v17
	v_add_nc_u32_e32 v24, 0x48, v17
	v_add_nc_u32_e32 v25, 0x6c, v17
	v_lshlrev_b32_e32 v27, 2, v16
	v_add_nc_u32_e32 v17, 0xb4, v17
	v_mul_lo_u32 v16, v11, v23
	v_mul_lo_u32 v23, v11, v24
	;; [unrolled: 1-line block ×5, first 2 shown]
	v_and_b32_e32 v26, 0xff, v19
	v_lshrrev_b32_e32 v28, 6, v19
	v_lshrrev_b32_e32 v19, 14, v19
	v_and_b32_e32 v17, 0xffff, v18
	v_and_b32_e32 v18, 0xff, v16
	v_lshrrev_b32_e32 v30, 6, v16
	v_lshrrev_b32_e32 v31, 14, v16
	v_and_b32_e32 v29, 0x3fc, v19
	v_and_b32_e32 v38, 0xff, v11
	v_lshrrev_b32_e32 v39, 6, v11
	v_lshrrev_b32_e32 v40, 14, v11
	v_mad_u32_u24 v11, 0x90, v17, 0
	ds_load_b32 v41, v10
	ds_load_2addr_b32 v[16:17], v0 offset0:36 offset1:72
	v_lshlrev_b32_e32 v42, 2, v18
	ds_load_2addr_b32 v[18:19], v0 offset0:108 offset1:144
	ds_load_b32 v43, v0 offset:720
	v_add3_u32 v11, v11, v21, v20
	v_and_b32_e32 v32, 0xff, v23
	v_lshrrev_b32_e32 v33, 6, v23
	v_lshrrev_b32_e32 v23, 14, v23
	v_and_b32_e32 v34, 0xff, v24
	v_lshrrev_b32_e32 v35, 6, v24
	v_lshrrev_b32_e32 v24, 14, v24
	;; [unrolled: 3-line block ×3, first 2 shown]
	global_wb scope:SCOPE_SE
	s_wait_loadcnt_dscnt 0x0
	s_barrier_signal -1
	s_barrier_wait -1
	global_inv scope:SCOPE_SE
	v_lshlrev_b32_e32 v26, 2, v26
	v_lshrrev_b32_e32 v20, 16, v41
	v_lshrrev_b32_e32 v21, 16, v16
	;; [unrolled: 1-line block ×6, first 2 shown]
	v_and_b32_e32 v28, 0x3fc, v28
	v_and_b32_e32 v30, 0x3fc, v30
	v_and_b32_e32 v31, 0x3fc, v31
	v_lshlrev_b32_e32 v32, 2, v32
	v_and_b32_e32 v33, 0x3fc, v33
	v_and_b32_e32 v23, 0x3fc, v23
	v_lshlrev_b32_e32 v34, 2, v34
	v_and_b32_e32 v35, 0x3fc, v35
	v_and_b32_e32 v24, 0x3fc, v24
	;; [unrolled: 3-line block ×3, first 2 shown]
	v_lshrrev_b32_e32 v48, 16, v12
	v_lshrrev_b32_e32 v49, 16, v13
	;; [unrolled: 1-line block ×5, first 2 shown]
	v_mul_f16_e32 v53, v48, v21
	v_mul_f16_e32 v48, v48, v16
	;; [unrolled: 1-line block ×10, first 2 shown]
	v_fma_f16 v16, v12, v16, -v53
	v_fmac_f16_e32 v48, v12, v21
	v_fma_f16 v12, v13, v17, -v54
	v_fmac_f16_e32 v49, v13, v44
	;; [unrolled: 2-line block ×5, first 2 shown]
	v_add_f16_e32 v17, v41, v12
	v_add_f16_e32 v18, v12, v14
	;; [unrolled: 1-line block ×5, first 2 shown]
	v_sub_f16_e32 v19, v49, v51
	v_add_f16_e32 v21, v20, v49
	v_sub_f16_e32 v12, v12, v14
	v_add_f16_e32 v43, v16, v13
	;; [unrolled: 2-line block ×3, first 2 shown]
	v_sub_f16_e32 v13, v13, v15
	v_fmac_f16_e32 v41, -0.5, v18
	v_fmac_f16_e32 v20, -0.5, v22
	;; [unrolled: 1-line block ×4, first 2 shown]
	v_add_f16_e32 v14, v17, v14
	v_add_f16_e32 v17, v21, v51
	;; [unrolled: 1-line block ×3, first 2 shown]
	v_fmamk_f16 v21, v19, 0x3aee, v41
	v_fmac_f16_e32 v41, 0xbaee, v19
	v_fmamk_f16 v19, v12, 0xbaee, v20
	v_fmac_f16_e32 v20, 0x3aee, v12
	v_fmamk_f16 v12, v45, 0x3aee, v16
	v_fmamk_f16 v22, v13, 0xbaee, v48
	v_fmac_f16_e32 v16, 0xbaee, v45
	v_fmac_f16_e32 v48, 0x3aee, v13
	v_add_f16_e32 v18, v46, v52
	v_add_f16_e32 v13, v14, v15
	v_sub_f16_e32 v14, v14, v15
	v_mul_f16_e32 v15, 0x3aee, v22
	v_mul_f16_e32 v45, 0xbaee, v12
	v_mul_f16_e32 v44, -0.5, v16
	v_mul_f16_e32 v46, -0.5, v48
	v_add_f16_e32 v43, v17, v18
	v_fmac_f16_e32 v15, 0.5, v12
	v_fmac_f16_e32 v45, 0.5, v22
	v_fmac_f16_e32 v44, 0x3aee, v48
	v_fmac_f16_e32 v46, 0xbaee, v16
	v_sub_f16_e32 v17, v17, v18
	v_pack_b32_f16 v12, v13, v43
	v_add_f16_e32 v13, v21, v15
	v_add_f16_e32 v18, v19, v45
	;; [unrolled: 1-line block ×4, first 2 shown]
	v_sub_f16_e32 v15, v21, v15
	v_sub_f16_e32 v21, v41, v44
	;; [unrolled: 1-line block ×4, first 2 shown]
	v_pack_b32_f16 v13, v13, v18
	v_pack_b32_f16 v14, v14, v17
	;; [unrolled: 1-line block ×5, first 2 shown]
	ds_store_2addr_b32 v11, v12, v13 offset1:6
	ds_store_2addr_b32 v11, v16, v14 offset0:12 offset1:18
	ds_store_2addr_b32 v11, v15, v17 offset0:24 offset1:30
	global_wb scope:SCOPE_SE
	s_wait_dscnt 0x0
	s_barrier_signal -1
	s_barrier_wait -1
	global_inv scope:SCOPE_SE
	global_load_b128 v[11:14], v27, s[2:3] offset:120
	v_lshlrev_b32_e32 v15, 2, v38
	v_and_b32_e32 v16, 0x3fc, v39
	v_and_b32_e32 v17, 0x3fc, v40
	global_load_b32 v19, v27, s[2:3] offset:136
	s_clause 0x11
	global_load_b32 v20, v26, s[8:9]
	global_load_b32 v21, v28, s[8:9] offset:1024
	global_load_b32 v22, v29, s[8:9] offset:2048
	global_load_b32 v26, v42, s[8:9]
	global_load_b32 v27, v30, s[8:9] offset:1024
	global_load_b32 v28, v31, s[8:9] offset:2048
	;; [unrolled: 3-line block ×6, first 2 shown]
	ds_load_b32 v10, v10
	ds_load_2addr_b32 v[15:16], v0 offset0:36 offset1:72
	ds_load_2addr_b32 v[17:18], v0 offset0:108 offset1:144
	ds_load_b32 v38, v0 offset:720
	global_wb scope:SCOPE_SE
	s_wait_loadcnt_dscnt 0x0
	s_barrier_signal -1
	s_barrier_wait -1
	global_inv scope:SCOPE_SE
	v_lshrrev_b32_e32 v39, 16, v10
	v_lshrrev_b32_e32 v40, 16, v15
	;; [unrolled: 1-line block ×11, first 2 shown]
	v_mul_f16_e32 v72, v49, v44
	v_mul_f16_e32 v49, v49, v38
	v_lshrrev_b32_e32 v56, 16, v29
	v_lshrrev_b32_e32 v57, 16, v30
	v_lshrrev_b32_e32 v54, 16, v27
	v_lshrrev_b32_e32 v59, 16, v31
	v_lshrrev_b32_e32 v60, 16, v32
	v_mul_f16_e32 v73, v50, v51
	v_lshrrev_b32_e32 v62, 16, v33
	v_lshrrev_b32_e32 v45, 16, v11
	;; [unrolled: 1-line block ×8, first 2 shown]
	v_mul_f16_e32 v68, v45, v40
	v_mul_f16_e32 v45, v45, v15
	;; [unrolled: 1-line block ×16, first 2 shown]
	v_fma_f16 v15, v11, v15, -v68
	v_fmac_f16_e32 v45, v11, v40
	v_fma_f16 v11, v12, v16, -v69
	v_fmac_f16_e32 v46, v12, v41
	;; [unrolled: 2-line block ×5, first 2 shown]
	v_lshrrev_b32_e32 v58, 16, v23
	v_lshrrev_b32_e32 v61, 16, v24
	v_mul_f16_e32 v74, v53, v54
	v_mul_f16_e32 v54, v26, v54
	v_mul_f16_e32 v63, v33, v63
	v_fma_f16 v16, v20, v21, -v73
	v_fmac_f16_e32 v51, v50, v21
	v_fma_f16 v18, v29, v30, -v75
	v_fmac_f16_e32 v57, v56, v30
	;; [unrolled: 2-line block ×3, first 2 shown]
	v_fma_f16 v20, v33, v34, -v77
	v_fma_f16 v21, v35, v36, -v78
	v_fmac_f16_e32 v66, v65, v36
	v_add_f16_e32 v31, v46, v48
	v_add_f16_e32 v33, v12, v14
	v_add_f16_e32 v36, v47, v49
	v_lshrrev_b32_e32 v55, 16, v28
	v_lshrrev_b32_e32 v64, 16, v25
	v_fma_f16 v17, v26, v27, -v74
	v_fmac_f16_e32 v54, v53, v27
	v_fmac_f16_e32 v63, v62, v34
	v_add_f16_e32 v26, v10, v11
	v_add_f16_e32 v27, v11, v13
	v_sub_f16_e32 v29, v46, v48
	v_add_f16_e32 v30, v39, v46
	v_sub_f16_e32 v11, v11, v13
	;; [unrolled: 2-line block ×4, first 2 shown]
	v_mul_f16_e32 v43, v57, v58
	v_mul_f16_e32 v44, v18, v58
	;; [unrolled: 1-line block ×4, first 2 shown]
	v_fmac_f16_e32 v39, -0.5, v31
	v_fmac_f16_e32 v15, -0.5, v33
	;; [unrolled: 1-line block ×3, first 2 shown]
	v_mul_f16_e32 v38, v51, v52
	v_mul_f16_e32 v40, v16, v52
	;; [unrolled: 1-line block ×6, first 2 shown]
	v_add_f16_e32 v13, v26, v13
	v_fmac_f16_e32 v10, -0.5, v27
	v_add_f16_e32 v26, v30, v48
	v_add_f16_e32 v14, v32, v14
	;; [unrolled: 1-line block ×3, first 2 shown]
	v_fma_f16 v18, v23, v18, -v43
	v_fmac_f16_e32 v44, v23, v57
	v_fma_f16 v19, v24, v19, -v46
	v_fmac_f16_e32 v47, v24, v60
	v_fmamk_f16 v23, v11, 0xbaee, v39
	v_fmac_f16_e32 v39, 0x3aee, v11
	v_fmamk_f16 v11, v34, 0x3aee, v15
	v_fmamk_f16 v24, v12, 0xbaee, v45
	v_fmac_f16_e32 v15, 0xbaee, v34
	v_fmac_f16_e32 v45, 0x3aee, v12
	;; [unrolled: 1-line block ×3, first 2 shown]
	v_fma_f16 v17, v28, v17, -v41
	v_fmac_f16_e32 v42, v28, v54
	v_fma_f16 v20, v25, v20, -v50
	v_fmac_f16_e32 v52, v25, v63
	v_add_f16_e32 v12, v13, v14
	v_add_f16_e32 v25, v26, v27
	v_sub_f16_e32 v13, v13, v14
	v_sub_f16_e32 v14, v26, v27
	v_mul_f16_e32 v26, 0x3aee, v24
	v_mul_f16_e32 v28, 0xbaee, v11
	v_fma_f16 v16, v22, v16, -v38
	v_fmamk_f16 v22, v29, 0x3aee, v10
	v_fmac_f16_e32 v10, 0xbaee, v29
	v_mul_f16_e32 v27, -0.5, v15
	v_mul_f16_e32 v29, -0.5, v45
	v_lshrrev_b32_e32 v67, 16, v37
	v_mul_f16_e32 v30, v25, v40
	v_mul_f16_e32 v32, v14, v47
	v_fmac_f16_e32 v26, 0.5, v11
	v_fmac_f16_e32 v28, 0.5, v24
	v_mul_f16_e32 v31, v12, v40
	v_mul_f16_e32 v33, v13, v47
	v_fmac_f16_e32 v27, 0x3aee, v45
	v_fmac_f16_e32 v29, 0xbaee, v15
	v_mul_f16_e32 v55, v21, v67
	v_fma_f16 v11, v12, v16, -v30
	v_fma_f16 v12, v13, v19, -v32
	v_add_f16_e32 v13, v22, v26
	v_add_f16_e32 v15, v23, v28
	v_fmac_f16_e32 v31, v25, v16
	v_fmac_f16_e32 v33, v14, v19
	v_add_f16_e32 v14, v10, v27
	v_add_f16_e32 v16, v39, v29
	v_mul_f16_e32 v53, v66, v67
	v_fmac_f16_e32 v55, v37, v66
	v_sub_f16_e32 v19, v22, v26
	v_sub_f16_e32 v10, v10, v27
	;; [unrolled: 1-line block ×4, first 2 shown]
	v_mul_f16_e32 v24, v15, v42
	v_mul_f16_e32 v25, v13, v42
	;; [unrolled: 1-line block ×4, first 2 shown]
	v_fma_f16 v21, v37, v21, -v53
	v_pack_b32_f16 v11, v11, v31
	v_mul_f16_e32 v28, v22, v52
	v_mul_f16_e32 v29, v19, v52
	;; [unrolled: 1-line block ×4, first 2 shown]
	v_fma_f16 v13, v13, v17, -v24
	v_fmac_f16_e32 v25, v15, v17
	v_fma_f16 v14, v14, v18, -v26
	v_fmac_f16_e32 v27, v16, v18
	;; [unrolled: 2-line block ×4, first 2 shown]
	v_pack_b32_f16 v13, v13, v25
	v_pack_b32_f16 v12, v12, v33
	;; [unrolled: 1-line block ×5, first 2 shown]
	ds_store_2addr_b32 v0, v11, v13 offset1:36
	ds_store_2addr_b32 v0, v14, v12 offset0:72 offset1:108
	ds_store_2addr_b32 v0, v15, v10 offset0:144 offset1:180
	global_wb scope:SCOPE_SE
	s_wait_dscnt 0x0
	s_barrier_signal -1
	s_barrier_wait -1
	global_inv scope:SCOPE_SE
	s_and_saveexec_b32 s2, s14
	s_cbranch_execz .LBB0_16
; %bb.15:
	v_mad_co_u64_u32 v[10:11], null, s6, v6, 0
	v_mad_co_u64_u32 v[12:13], null, s4, v5, 0
	;; [unrolled: 1-line block ×3, first 2 shown]
	v_add3_u32 v20, 0, v9, v8
	s_lshl_b64 s[2:3], s[10:11], 2
	s_delay_alu instid0(VALU_DEP_4) | instskip(SKIP_2) | instid1(VALU_DEP_4)
	v_mov_b32_e32 v0, v11
	s_wait_alu 0xfffe
	s_add_nc_u64 s[0:1], s[0:1], s[2:3]
	v_mov_b32_e32 v11, v13
	ds_load_2addr_b32 v[8:9], v20 offset1:36
	v_mad_co_u64_u32 v[16:17], null, s7, v6, v[0:1]
	v_mad_co_u64_u32 v[5:6], null, s5, v5, v[11:12]
	s_delay_alu instid0(VALU_DEP_2) | instskip(SKIP_1) | instid1(VALU_DEP_2)
	v_dual_mov_b32 v0, v15 :: v_dual_mov_b32 v11, v16
	v_mad_co_u64_u32 v[16:17], null, s4, v4, 0
	v_mad_co_u64_u32 v[6:7], null, s5, v7, v[0:1]
	s_delay_alu instid0(VALU_DEP_4) | instskip(NEXT) | instid1(VALU_DEP_4)
	v_mov_b32_e32 v13, v5
	v_lshlrev_b64_e32 v[10:11], 2, v[10:11]
	s_delay_alu instid0(VALU_DEP_4) | instskip(NEXT) | instid1(VALU_DEP_3)
	v_mov_b32_e32 v0, v17
	v_lshlrev_b64_e32 v[12:13], 2, v[12:13]
	s_delay_alu instid0(VALU_DEP_3) | instskip(SKIP_1) | instid1(VALU_DEP_4)
	v_add_co_u32 v21, vcc_lo, s0, v10
	s_wait_alu 0xfffd
	v_add_co_ci_u32_e32 v22, vcc_lo, s1, v11, vcc_lo
	v_mad_co_u64_u32 v[10:11], null, s4, v2, 0
	v_mov_b32_e32 v15, v6
	v_add_co_u32 v5, vcc_lo, v21, v12
	s_wait_alu 0xfffd
	v_add_co_ci_u32_e32 v6, vcc_lo, v22, v13, vcc_lo
	s_delay_alu instid0(VALU_DEP_3)
	v_lshlrev_b64_e32 v[12:13], 2, v[14:15]
	s_wait_dscnt 0x0
	global_store_b32 v[5:6], v8, off
	v_mad_co_u64_u32 v[5:6], null, s4, v3, 0
	v_add_co_u32 v7, vcc_lo, v21, v12
	s_wait_alu 0xfffd
	v_add_co_ci_u32_e32 v8, vcc_lo, v22, v13, vcc_lo
	v_mad_co_u64_u32 v[12:13], null, s5, v4, v[0:1]
	v_mov_b32_e32 v0, v11
	v_mad_co_u64_u32 v[13:14], null, s4, v1, 0
	v_mov_b32_e32 v4, v6
	global_store_b32 v[7:8], v9, off
	v_mad_co_u64_u32 v[18:19], null, s5, v2, v[0:1]
	v_mov_b32_e32 v17, v12
	v_mad_co_u64_u32 v[2:3], null, s5, v3, v[4:5]
	v_mov_b32_e32 v0, v14
	ds_load_2addr_b32 v[3:4], v20 offset0:72 offset1:108
	v_lshlrev_b64_e32 v[7:8], 2, v[16:17]
	v_mov_b32_e32 v11, v18
	v_mad_co_u64_u32 v[0:1], null, s5, v1, v[0:1]
	v_mov_b32_e32 v6, v2
	s_delay_alu instid0(VALU_DEP_4)
	v_add_co_u32 v1, vcc_lo, v21, v7
	s_wait_alu 0xfffd
	v_add_co_ci_u32_e32 v2, vcc_lo, v22, v8, vcc_lo
	v_lshlrev_b64_e32 v[7:8], 2, v[10:11]
	ds_load_2addr_b32 v[9:10], v20 offset0:144 offset1:180
	v_mov_b32_e32 v14, v0
	v_lshlrev_b64_e32 v[5:6], 2, v[5:6]
	v_add_co_u32 v7, vcc_lo, v21, v7
	s_delay_alu instid0(VALU_DEP_3) | instskip(SKIP_2) | instid1(VALU_DEP_4)
	v_lshlrev_b64_e32 v[11:12], 2, v[13:14]
	s_wait_alu 0xfffd
	v_add_co_ci_u32_e32 v8, vcc_lo, v22, v8, vcc_lo
	v_add_co_u32 v5, vcc_lo, v21, v5
	s_wait_alu 0xfffd
	v_add_co_ci_u32_e32 v6, vcc_lo, v22, v6, vcc_lo
	v_add_co_u32 v11, vcc_lo, v21, v11
	s_wait_alu 0xfffd
	v_add_co_ci_u32_e32 v12, vcc_lo, v22, v12, vcc_lo
	s_wait_dscnt 0x1
	s_clause 0x1
	global_store_b32 v[1:2], v3, off
	global_store_b32 v[7:8], v4, off
	s_wait_dscnt 0x0
	s_clause 0x1
	global_store_b32 v[5:6], v9, off
	global_store_b32 v[11:12], v10, off
.LBB0_16:
	s_nop 0
	s_sendmsg sendmsg(MSG_DEALLOC_VGPRS)
	s_endpgm
	.section	.rodata,"a",@progbits
	.p2align	6, 0x0
	.amdhsa_kernel fft_rtc_fwd_len216_factors_6_6_6_wgs_324_tpt_36_half_ip_CI_sbcc_twdbase8_3step
		.amdhsa_group_segment_fixed_size 0
		.amdhsa_private_segment_fixed_size 0
		.amdhsa_kernarg_size 96
		.amdhsa_user_sgpr_count 2
		.amdhsa_user_sgpr_dispatch_ptr 0
		.amdhsa_user_sgpr_queue_ptr 0
		.amdhsa_user_sgpr_kernarg_segment_ptr 1
		.amdhsa_user_sgpr_dispatch_id 0
		.amdhsa_user_sgpr_private_segment_size 0
		.amdhsa_wavefront_size32 1
		.amdhsa_uses_dynamic_stack 0
		.amdhsa_enable_private_segment 0
		.amdhsa_system_sgpr_workgroup_id_x 1
		.amdhsa_system_sgpr_workgroup_id_y 0
		.amdhsa_system_sgpr_workgroup_id_z 0
		.amdhsa_system_sgpr_workgroup_info 0
		.amdhsa_system_vgpr_workitem_id 0
		.amdhsa_next_free_vgpr 79
		.amdhsa_next_free_sgpr 51
		.amdhsa_reserve_vcc 1
		.amdhsa_float_round_mode_32 0
		.amdhsa_float_round_mode_16_64 0
		.amdhsa_float_denorm_mode_32 3
		.amdhsa_float_denorm_mode_16_64 3
		.amdhsa_fp16_overflow 0
		.amdhsa_workgroup_processor_mode 1
		.amdhsa_memory_ordered 1
		.amdhsa_forward_progress 0
		.amdhsa_round_robin_scheduling 0
		.amdhsa_exception_fp_ieee_invalid_op 0
		.amdhsa_exception_fp_denorm_src 0
		.amdhsa_exception_fp_ieee_div_zero 0
		.amdhsa_exception_fp_ieee_overflow 0
		.amdhsa_exception_fp_ieee_underflow 0
		.amdhsa_exception_fp_ieee_inexact 0
		.amdhsa_exception_int_div_zero 0
	.end_amdhsa_kernel
	.text
.Lfunc_end0:
	.size	fft_rtc_fwd_len216_factors_6_6_6_wgs_324_tpt_36_half_ip_CI_sbcc_twdbase8_3step, .Lfunc_end0-fft_rtc_fwd_len216_factors_6_6_6_wgs_324_tpt_36_half_ip_CI_sbcc_twdbase8_3step
                                        ; -- End function
	.section	.AMDGPU.csdata,"",@progbits
; Kernel info:
; codeLenInByte = 5900
; NumSgprs: 53
; NumVgprs: 79
; ScratchSize: 0
; MemoryBound: 0
; FloatMode: 240
; IeeeMode: 1
; LDSByteSize: 0 bytes/workgroup (compile time only)
; SGPRBlocks: 6
; VGPRBlocks: 9
; NumSGPRsForWavesPerEU: 53
; NumVGPRsForWavesPerEU: 79
; Occupancy: 14
; WaveLimiterHint : 1
; COMPUTE_PGM_RSRC2:SCRATCH_EN: 0
; COMPUTE_PGM_RSRC2:USER_SGPR: 2
; COMPUTE_PGM_RSRC2:TRAP_HANDLER: 0
; COMPUTE_PGM_RSRC2:TGID_X_EN: 1
; COMPUTE_PGM_RSRC2:TGID_Y_EN: 0
; COMPUTE_PGM_RSRC2:TGID_Z_EN: 0
; COMPUTE_PGM_RSRC2:TIDIG_COMP_CNT: 0
	.text
	.p2alignl 7, 3214868480
	.fill 96, 4, 3214868480
	.type	__hip_cuid_4606ab60e6687cbd,@object ; @__hip_cuid_4606ab60e6687cbd
	.section	.bss,"aw",@nobits
	.globl	__hip_cuid_4606ab60e6687cbd
__hip_cuid_4606ab60e6687cbd:
	.byte	0                               ; 0x0
	.size	__hip_cuid_4606ab60e6687cbd, 1

	.ident	"AMD clang version 19.0.0git (https://github.com/RadeonOpenCompute/llvm-project roc-6.4.0 25133 c7fe45cf4b819c5991fe208aaa96edf142730f1d)"
	.section	".note.GNU-stack","",@progbits
	.addrsig
	.addrsig_sym __hip_cuid_4606ab60e6687cbd
	.amdgpu_metadata
---
amdhsa.kernels:
  - .args:
      - .actual_access:  read_only
        .address_space:  global
        .offset:         0
        .size:           8
        .value_kind:     global_buffer
      - .address_space:  global
        .offset:         8
        .size:           8
        .value_kind:     global_buffer
      - .offset:         16
        .size:           8
        .value_kind:     by_value
      - .actual_access:  read_only
        .address_space:  global
        .offset:         24
        .size:           8
        .value_kind:     global_buffer
      - .actual_access:  read_only
        .address_space:  global
        .offset:         32
        .size:           8
        .value_kind:     global_buffer
      - .offset:         40
        .size:           8
        .value_kind:     by_value
      - .actual_access:  read_only
        .address_space:  global
        .offset:         48
        .size:           8
        .value_kind:     global_buffer
      - .actual_access:  read_only
        .address_space:  global
        .offset:         56
        .size:           8
        .value_kind:     global_buffer
      - .offset:         64
        .size:           4
        .value_kind:     by_value
      - .actual_access:  read_only
        .address_space:  global
        .offset:         72
        .size:           8
        .value_kind:     global_buffer
      - .actual_access:  read_only
        .address_space:  global
        .offset:         80
        .size:           8
        .value_kind:     global_buffer
      - .address_space:  global
        .offset:         88
        .size:           8
        .value_kind:     global_buffer
    .group_segment_fixed_size: 0
    .kernarg_segment_align: 8
    .kernarg_segment_size: 96
    .language:       OpenCL C
    .language_version:
      - 2
      - 0
    .max_flat_workgroup_size: 324
    .name:           fft_rtc_fwd_len216_factors_6_6_6_wgs_324_tpt_36_half_ip_CI_sbcc_twdbase8_3step
    .private_segment_fixed_size: 0
    .sgpr_count:     53
    .sgpr_spill_count: 0
    .symbol:         fft_rtc_fwd_len216_factors_6_6_6_wgs_324_tpt_36_half_ip_CI_sbcc_twdbase8_3step.kd
    .uniform_work_group_size: 1
    .uses_dynamic_stack: false
    .vgpr_count:     79
    .vgpr_spill_count: 0
    .wavefront_size: 32
    .workgroup_processor_mode: 1
amdhsa.target:   amdgcn-amd-amdhsa--gfx1201
amdhsa.version:
  - 1
  - 2
...

	.end_amdgpu_metadata
